;; amdgpu-corpus repo=ROCm/rocFFT kind=compiled arch=gfx1201 opt=O3
	.text
	.amdgcn_target "amdgcn-amd-amdhsa--gfx1201"
	.amdhsa_code_object_version 6
	.protected	fft_rtc_back_len324_factors_3_6_6_3_wgs_54_tpt_54_halfLds_sp_ip_CI_unitstride_sbrr_C2R_dirReg ; -- Begin function fft_rtc_back_len324_factors_3_6_6_3_wgs_54_tpt_54_halfLds_sp_ip_CI_unitstride_sbrr_C2R_dirReg
	.globl	fft_rtc_back_len324_factors_3_6_6_3_wgs_54_tpt_54_halfLds_sp_ip_CI_unitstride_sbrr_C2R_dirReg
	.p2align	8
	.type	fft_rtc_back_len324_factors_3_6_6_3_wgs_54_tpt_54_halfLds_sp_ip_CI_unitstride_sbrr_C2R_dirReg,@function
fft_rtc_back_len324_factors_3_6_6_3_wgs_54_tpt_54_halfLds_sp_ip_CI_unitstride_sbrr_C2R_dirReg: ; @fft_rtc_back_len324_factors_3_6_6_3_wgs_54_tpt_54_halfLds_sp_ip_CI_unitstride_sbrr_C2R_dirReg
; %bb.0:
	s_clause 0x2
	s_load_b128 s[4:7], s[0:1], 0x0
	s_load_b64 s[8:9], s[0:1], 0x50
	s_load_b64 s[10:11], s[0:1], 0x18
	v_mul_u32_u24_e32 v1, 0x4be, v0
	v_mov_b32_e32 v3, 0
	s_delay_alu instid0(VALU_DEP_2) | instskip(NEXT) | instid1(VALU_DEP_1)
	v_lshrrev_b32_e32 v1, 16, v1
	v_add_nc_u32_e32 v5, ttmp9, v1
	v_mov_b32_e32 v1, 0
	v_mov_b32_e32 v2, 0
	;; [unrolled: 1-line block ×3, first 2 shown]
	s_wait_kmcnt 0x0
	v_cmp_lt_u64_e64 s2, s[6:7], 2
	s_delay_alu instid0(VALU_DEP_1)
	s_and_b32 vcc_lo, exec_lo, s2
	s_cbranch_vccnz .LBB0_8
; %bb.1:
	s_load_b64 s[2:3], s[0:1], 0x10
	v_mov_b32_e32 v1, 0
	v_mov_b32_e32 v2, 0
	s_add_nc_u64 s[12:13], s[10:11], 8
	s_mov_b64 s[14:15], 1
	s_wait_kmcnt 0x0
	s_add_nc_u64 s[16:17], s[2:3], 8
	s_mov_b32 s3, 0
.LBB0_2:                                ; =>This Inner Loop Header: Depth=1
	s_load_b64 s[18:19], s[16:17], 0x0
                                        ; implicit-def: $vgpr7_vgpr8
	s_mov_b32 s2, exec_lo
	s_wait_kmcnt 0x0
	v_or_b32_e32 v4, s19, v6
	s_delay_alu instid0(VALU_DEP_1)
	v_cmpx_ne_u64_e32 0, v[3:4]
	s_wait_alu 0xfffe
	s_xor_b32 s20, exec_lo, s2
	s_cbranch_execz .LBB0_4
; %bb.3:                                ;   in Loop: Header=BB0_2 Depth=1
	s_cvt_f32_u32 s2, s18
	s_cvt_f32_u32 s21, s19
	s_sub_nc_u64 s[24:25], 0, s[18:19]
	s_wait_alu 0xfffe
	s_delay_alu instid0(SALU_CYCLE_1) | instskip(SKIP_1) | instid1(SALU_CYCLE_2)
	s_fmamk_f32 s2, s21, 0x4f800000, s2
	s_wait_alu 0xfffe
	v_s_rcp_f32 s2, s2
	s_delay_alu instid0(TRANS32_DEP_1) | instskip(SKIP_1) | instid1(SALU_CYCLE_2)
	s_mul_f32 s2, s2, 0x5f7ffffc
	s_wait_alu 0xfffe
	s_mul_f32 s21, s2, 0x2f800000
	s_wait_alu 0xfffe
	s_delay_alu instid0(SALU_CYCLE_2) | instskip(SKIP_1) | instid1(SALU_CYCLE_2)
	s_trunc_f32 s21, s21
	s_wait_alu 0xfffe
	s_fmamk_f32 s2, s21, 0xcf800000, s2
	s_cvt_u32_f32 s23, s21
	s_wait_alu 0xfffe
	s_delay_alu instid0(SALU_CYCLE_1) | instskip(SKIP_1) | instid1(SALU_CYCLE_2)
	s_cvt_u32_f32 s22, s2
	s_wait_alu 0xfffe
	s_mul_u64 s[26:27], s[24:25], s[22:23]
	s_wait_alu 0xfffe
	s_mul_hi_u32 s29, s22, s27
	s_mul_i32 s28, s22, s27
	s_mul_hi_u32 s2, s22, s26
	s_mul_i32 s30, s23, s26
	s_wait_alu 0xfffe
	s_add_nc_u64 s[28:29], s[2:3], s[28:29]
	s_mul_hi_u32 s21, s23, s26
	s_mul_hi_u32 s31, s23, s27
	s_add_co_u32 s2, s28, s30
	s_wait_alu 0xfffe
	s_add_co_ci_u32 s2, s29, s21
	s_mul_i32 s26, s23, s27
	s_add_co_ci_u32 s27, s31, 0
	s_wait_alu 0xfffe
	s_add_nc_u64 s[26:27], s[2:3], s[26:27]
	s_wait_alu 0xfffe
	v_add_co_u32 v4, s2, s22, s26
	s_delay_alu instid0(VALU_DEP_1) | instskip(SKIP_1) | instid1(VALU_DEP_1)
	s_cmp_lg_u32 s2, 0
	s_add_co_ci_u32 s23, s23, s27
	v_readfirstlane_b32 s22, v4
	s_wait_alu 0xfffe
	s_delay_alu instid0(VALU_DEP_1)
	s_mul_u64 s[24:25], s[24:25], s[22:23]
	s_wait_alu 0xfffe
	s_mul_hi_u32 s27, s22, s25
	s_mul_i32 s26, s22, s25
	s_mul_hi_u32 s2, s22, s24
	s_mul_i32 s28, s23, s24
	s_wait_alu 0xfffe
	s_add_nc_u64 s[26:27], s[2:3], s[26:27]
	s_mul_hi_u32 s21, s23, s24
	s_mul_hi_u32 s22, s23, s25
	s_wait_alu 0xfffe
	s_add_co_u32 s2, s26, s28
	s_add_co_ci_u32 s2, s27, s21
	s_mul_i32 s24, s23, s25
	s_add_co_ci_u32 s25, s22, 0
	s_wait_alu 0xfffe
	s_add_nc_u64 s[24:25], s[2:3], s[24:25]
	s_wait_alu 0xfffe
	v_add_co_u32 v4, s2, v4, s24
	s_delay_alu instid0(VALU_DEP_1) | instskip(SKIP_1) | instid1(VALU_DEP_1)
	s_cmp_lg_u32 s2, 0
	s_add_co_ci_u32 s2, s23, s25
	v_mul_hi_u32 v13, v5, v4
	s_wait_alu 0xfffe
	v_mad_co_u64_u32 v[7:8], null, v5, s2, 0
	v_mad_co_u64_u32 v[9:10], null, v6, v4, 0
	;; [unrolled: 1-line block ×3, first 2 shown]
	s_delay_alu instid0(VALU_DEP_3) | instskip(SKIP_1) | instid1(VALU_DEP_4)
	v_add_co_u32 v4, vcc_lo, v13, v7
	s_wait_alu 0xfffd
	v_add_co_ci_u32_e32 v7, vcc_lo, 0, v8, vcc_lo
	s_delay_alu instid0(VALU_DEP_2) | instskip(SKIP_1) | instid1(VALU_DEP_2)
	v_add_co_u32 v4, vcc_lo, v4, v9
	s_wait_alu 0xfffd
	v_add_co_ci_u32_e32 v4, vcc_lo, v7, v10, vcc_lo
	s_wait_alu 0xfffd
	v_add_co_ci_u32_e32 v7, vcc_lo, 0, v12, vcc_lo
	s_delay_alu instid0(VALU_DEP_2) | instskip(SKIP_1) | instid1(VALU_DEP_2)
	v_add_co_u32 v4, vcc_lo, v4, v11
	s_wait_alu 0xfffd
	v_add_co_ci_u32_e32 v9, vcc_lo, 0, v7, vcc_lo
	s_delay_alu instid0(VALU_DEP_2) | instskip(SKIP_1) | instid1(VALU_DEP_3)
	v_mul_lo_u32 v10, s19, v4
	v_mad_co_u64_u32 v[7:8], null, s18, v4, 0
	v_mul_lo_u32 v11, s18, v9
	s_delay_alu instid0(VALU_DEP_2) | instskip(NEXT) | instid1(VALU_DEP_2)
	v_sub_co_u32 v7, vcc_lo, v5, v7
	v_add3_u32 v8, v8, v11, v10
	s_delay_alu instid0(VALU_DEP_1) | instskip(SKIP_1) | instid1(VALU_DEP_1)
	v_sub_nc_u32_e32 v10, v6, v8
	s_wait_alu 0xfffd
	v_subrev_co_ci_u32_e64 v10, s2, s19, v10, vcc_lo
	v_add_co_u32 v11, s2, v4, 2
	s_wait_alu 0xf1ff
	v_add_co_ci_u32_e64 v12, s2, 0, v9, s2
	v_sub_co_u32 v13, s2, v7, s18
	v_sub_co_ci_u32_e32 v8, vcc_lo, v6, v8, vcc_lo
	s_wait_alu 0xf1ff
	v_subrev_co_ci_u32_e64 v10, s2, 0, v10, s2
	s_delay_alu instid0(VALU_DEP_3) | instskip(NEXT) | instid1(VALU_DEP_3)
	v_cmp_le_u32_e32 vcc_lo, s18, v13
	v_cmp_eq_u32_e64 s2, s19, v8
	s_wait_alu 0xfffd
	v_cndmask_b32_e64 v13, 0, -1, vcc_lo
	v_cmp_le_u32_e32 vcc_lo, s19, v10
	s_wait_alu 0xfffd
	v_cndmask_b32_e64 v14, 0, -1, vcc_lo
	v_cmp_le_u32_e32 vcc_lo, s18, v7
	;; [unrolled: 3-line block ×3, first 2 shown]
	s_wait_alu 0xfffd
	v_cndmask_b32_e64 v15, 0, -1, vcc_lo
	v_cmp_eq_u32_e32 vcc_lo, s19, v10
	s_wait_alu 0xf1ff
	s_delay_alu instid0(VALU_DEP_2)
	v_cndmask_b32_e64 v7, v15, v7, s2
	s_wait_alu 0xfffd
	v_cndmask_b32_e32 v10, v14, v13, vcc_lo
	v_add_co_u32 v13, vcc_lo, v4, 1
	s_wait_alu 0xfffd
	v_add_co_ci_u32_e32 v14, vcc_lo, 0, v9, vcc_lo
	s_delay_alu instid0(VALU_DEP_3) | instskip(SKIP_2) | instid1(VALU_DEP_3)
	v_cmp_ne_u32_e32 vcc_lo, 0, v10
	s_wait_alu 0xfffd
	v_cndmask_b32_e32 v10, v13, v11, vcc_lo
	v_cndmask_b32_e32 v8, v14, v12, vcc_lo
	v_cmp_ne_u32_e32 vcc_lo, 0, v7
	s_wait_alu 0xfffd
	s_delay_alu instid0(VALU_DEP_2)
	v_dual_cndmask_b32 v7, v4, v10 :: v_dual_cndmask_b32 v8, v9, v8
.LBB0_4:                                ;   in Loop: Header=BB0_2 Depth=1
	s_wait_alu 0xfffe
	s_and_not1_saveexec_b32 s2, s20
	s_cbranch_execz .LBB0_6
; %bb.5:                                ;   in Loop: Header=BB0_2 Depth=1
	v_cvt_f32_u32_e32 v4, s18
	s_sub_co_i32 s20, 0, s18
	s_delay_alu instid0(VALU_DEP_1) | instskip(NEXT) | instid1(TRANS32_DEP_1)
	v_rcp_iflag_f32_e32 v4, v4
	v_mul_f32_e32 v4, 0x4f7ffffe, v4
	s_delay_alu instid0(VALU_DEP_1) | instskip(SKIP_1) | instid1(VALU_DEP_1)
	v_cvt_u32_f32_e32 v4, v4
	s_wait_alu 0xfffe
	v_mul_lo_u32 v7, s20, v4
	s_delay_alu instid0(VALU_DEP_1) | instskip(NEXT) | instid1(VALU_DEP_1)
	v_mul_hi_u32 v7, v4, v7
	v_add_nc_u32_e32 v4, v4, v7
	s_delay_alu instid0(VALU_DEP_1) | instskip(NEXT) | instid1(VALU_DEP_1)
	v_mul_hi_u32 v4, v5, v4
	v_mul_lo_u32 v7, v4, s18
	v_add_nc_u32_e32 v8, 1, v4
	s_delay_alu instid0(VALU_DEP_2) | instskip(NEXT) | instid1(VALU_DEP_1)
	v_sub_nc_u32_e32 v7, v5, v7
	v_subrev_nc_u32_e32 v9, s18, v7
	v_cmp_le_u32_e32 vcc_lo, s18, v7
	s_wait_alu 0xfffd
	s_delay_alu instid0(VALU_DEP_2) | instskip(NEXT) | instid1(VALU_DEP_1)
	v_dual_cndmask_b32 v7, v7, v9 :: v_dual_cndmask_b32 v4, v4, v8
	v_cmp_le_u32_e32 vcc_lo, s18, v7
	s_delay_alu instid0(VALU_DEP_2) | instskip(SKIP_1) | instid1(VALU_DEP_1)
	v_add_nc_u32_e32 v8, 1, v4
	s_wait_alu 0xfffd
	v_dual_cndmask_b32 v7, v4, v8 :: v_dual_mov_b32 v8, v3
.LBB0_6:                                ;   in Loop: Header=BB0_2 Depth=1
	s_wait_alu 0xfffe
	s_or_b32 exec_lo, exec_lo, s2
	s_load_b64 s[20:21], s[12:13], 0x0
	s_delay_alu instid0(VALU_DEP_1)
	v_mul_lo_u32 v4, v8, s18
	v_mul_lo_u32 v11, v7, s19
	v_mad_co_u64_u32 v[9:10], null, v7, s18, 0
	s_add_nc_u64 s[14:15], s[14:15], 1
	s_add_nc_u64 s[12:13], s[12:13], 8
	s_wait_alu 0xfffe
	v_cmp_ge_u64_e64 s2, s[14:15], s[6:7]
	s_add_nc_u64 s[16:17], s[16:17], 8
	s_delay_alu instid0(VALU_DEP_2) | instskip(NEXT) | instid1(VALU_DEP_3)
	v_add3_u32 v4, v10, v11, v4
	v_sub_co_u32 v5, vcc_lo, v5, v9
	s_wait_alu 0xfffd
	s_delay_alu instid0(VALU_DEP_2) | instskip(SKIP_3) | instid1(VALU_DEP_2)
	v_sub_co_ci_u32_e32 v4, vcc_lo, v6, v4, vcc_lo
	s_and_b32 vcc_lo, exec_lo, s2
	s_wait_kmcnt 0x0
	v_mul_lo_u32 v6, s21, v5
	v_mul_lo_u32 v4, s20, v4
	v_mad_co_u64_u32 v[1:2], null, s20, v5, v[1:2]
	s_delay_alu instid0(VALU_DEP_1)
	v_add3_u32 v2, v6, v2, v4
	s_wait_alu 0xfffe
	s_cbranch_vccnz .LBB0_9
; %bb.7:                                ;   in Loop: Header=BB0_2 Depth=1
	v_dual_mov_b32 v5, v7 :: v_dual_mov_b32 v6, v8
	s_branch .LBB0_2
.LBB0_8:
	v_dual_mov_b32 v8, v6 :: v_dual_mov_b32 v7, v5
.LBB0_9:
	s_lshl_b64 s[2:3], s[6:7], 3
	v_mul_hi_u32 v5, 0x4bda130, v0
	s_wait_alu 0xfffe
	s_add_nc_u64 s[2:3], s[10:11], s[2:3]
	s_load_b64 s[2:3], s[2:3], 0x0
	s_load_b64 s[0:1], s[0:1], 0x20
	s_wait_kmcnt 0x0
	v_mul_lo_u32 v3, s2, v8
	v_mul_lo_u32 v4, s3, v7
	v_mad_co_u64_u32 v[1:2], null, s2, v7, v[1:2]
	v_cmp_gt_u64_e32 vcc_lo, s[0:1], v[7:8]
	s_delay_alu instid0(VALU_DEP_2) | instskip(SKIP_1) | instid1(VALU_DEP_2)
	v_add3_u32 v2, v4, v2, v3
	v_mul_u32_u24_e32 v4, 54, v5
	v_lshlrev_b64_e32 v[2:3], 3, v[1:2]
	s_delay_alu instid0(VALU_DEP_2)
	v_sub_nc_u32_e32 v0, v0, v4
	s_and_saveexec_b32 s1, vcc_lo
	s_cbranch_execz .LBB0_13
; %bb.10:
	v_mov_b32_e32 v1, 0
	s_delay_alu instid0(VALU_DEP_3) | instskip(SKIP_2) | instid1(VALU_DEP_3)
	v_add_co_u32 v4, s0, s8, v2
	s_wait_alu 0xf1ff
	v_add_co_ci_u32_e64 v5, s0, s9, v3, s0
	v_lshlrev_b64_e32 v[6:7], 3, v[0:1]
	v_lshl_add_u32 v18, v0, 3, 0
	s_mov_b32 s2, exec_lo
	s_delay_alu instid0(VALU_DEP_1) | instskip(NEXT) | instid1(VALU_DEP_3)
	v_add_nc_u32_e32 v19, 0x400, v18
	v_add_co_u32 v6, s0, v4, v6
	s_wait_alu 0xf1ff
	v_add_co_ci_u32_e64 v7, s0, v5, v7, s0
	s_clause 0x5
	global_load_b64 v[8:9], v[6:7], off
	global_load_b64 v[10:11], v[6:7], off offset:432
	global_load_b64 v[12:13], v[6:7], off offset:864
	;; [unrolled: 1-line block ×5, first 2 shown]
	s_wait_loadcnt 0x4
	ds_store_2addr_b64 v18, v[8:9], v[10:11] offset1:54
	s_wait_loadcnt 0x2
	ds_store_2addr_b64 v18, v[12:13], v[14:15] offset0:108 offset1:162
	s_wait_loadcnt 0x0
	ds_store_2addr_b64 v19, v[16:17], v[6:7] offset0:88 offset1:142
	v_cmpx_eq_u32_e32 53, v0
	s_cbranch_execz .LBB0_12
; %bb.11:
	global_load_b64 v[4:5], v[4:5], off offset:2592
	v_mov_b32_e32 v0, 53
	s_wait_loadcnt 0x0
	ds_store_b64 v1, v[4:5] offset:2592
.LBB0_12:
	s_wait_alu 0xfffe
	s_or_b32 exec_lo, exec_lo, s2
.LBB0_13:
	s_wait_alu 0xfffe
	s_or_b32 exec_lo, exec_lo, s1
	v_lshlrev_b32_e32 v1, 3, v0
	global_wb scope:SCOPE_SE
	s_wait_dscnt 0x0
	s_barrier_signal -1
	s_barrier_wait -1
	global_inv scope:SCOPE_SE
	v_add_nc_u32_e32 v8, 0, v1
	v_sub_nc_u32_e32 v9, 0, v1
	s_mov_b32 s1, exec_lo
                                        ; implicit-def: $vgpr6_vgpr7
	ds_load_b32 v10, v8
	ds_load_b32 v11, v9 offset:2592
	s_wait_dscnt 0x0
	v_dual_sub_f32 v5, v10, v11 :: v_dual_add_f32 v4, v11, v10
	v_cmpx_ne_u32_e32 0, v0
	s_wait_alu 0xfffe
	s_xor_b32 s1, exec_lo, s1
	s_cbranch_execz .LBB0_15
; %bb.14:
	v_dual_mov_b32 v1, 0 :: v_dual_add_f32 v12, v11, v10
	s_delay_alu instid0(VALU_DEP_1) | instskip(NEXT) | instid1(VALU_DEP_1)
	v_lshlrev_b64_e32 v[4:5], 3, v[0:1]
	v_add_co_u32 v4, s0, s4, v4
	s_wait_alu 0xf1ff
	s_delay_alu instid0(VALU_DEP_2)
	v_add_co_ci_u32_e64 v5, s0, s5, v5, s0
	global_load_b64 v[6:7], v[4:5], off offset:2568
	ds_load_b32 v4, v9 offset:2596
	ds_load_b32 v5, v8 offset:4
	s_wait_dscnt 0x0
	v_dual_sub_f32 v13, v10, v11 :: v_dual_add_f32 v14, v4, v5
	v_sub_f32_e32 v4, v5, v4
	s_wait_loadcnt 0x0
	s_delay_alu instid0(VALU_DEP_2) | instskip(NEXT) | instid1(VALU_DEP_2)
	v_fma_f32 v10, -v13, v7, v12
	v_fma_f32 v11, v14, v7, -v4
	v_fma_f32 v15, v13, v7, v12
	v_fma_f32 v5, v14, v7, v4
	s_delay_alu instid0(VALU_DEP_4) | instskip(NEXT) | instid1(VALU_DEP_4)
	v_fmac_f32_e32 v10, v6, v14
	v_fmac_f32_e32 v11, v13, v6
	s_delay_alu instid0(VALU_DEP_4) | instskip(NEXT) | instid1(VALU_DEP_4)
	v_fma_f32 v4, -v6, v14, v15
	v_fmac_f32_e32 v5, v13, v6
	v_dual_mov_b32 v7, v1 :: v_dual_mov_b32 v6, v0
	ds_store_b64 v9, v[10:11] offset:2592
.LBB0_15:
	s_wait_alu 0xfffe
	s_and_not1_saveexec_b32 s0, s1
	s_cbranch_execz .LBB0_17
; %bb.16:
	v_mov_b32_e32 v1, 0
	ds_load_b64 v[6:7], v1 offset:1296
	s_wait_dscnt 0x0
	v_dual_add_f32 v10, v6, v6 :: v_dual_mul_f32 v11, -2.0, v7
	v_mov_b32_e32 v6, 0
	v_mov_b32_e32 v7, 0
	ds_store_b64 v1, v[10:11] offset:1296
.LBB0_17:
	s_wait_alu 0xfffe
	s_or_b32 exec_lo, exec_lo, s0
	v_lshlrev_b64_e32 v[6:7], 3, v[6:7]
	s_add_nc_u64 s[0:1], s[4:5], 0xa08
	v_lshl_add_u32 v19, v0, 4, v8
	v_and_b32_e32 v17, 0xff, v0
	s_wait_alu 0xfffe
	s_delay_alu instid0(VALU_DEP_3)
	v_add_co_u32 v6, s0, s0, v6
	s_wait_alu 0xf1ff
	v_add_co_ci_u32_e64 v7, s0, s1, v7, s0
	s_clause 0x1
	global_load_b64 v[10:11], v[6:7], off offset:432
	global_load_b64 v[6:7], v[6:7], off offset:864
	ds_store_b64 v8, v[4:5]
	ds_load_b64 v[4:5], v8 offset:432
	ds_load_b64 v[12:13], v9 offset:2160
	s_wait_dscnt 0x0
	v_dual_add_f32 v1, v4, v12 :: v_dual_add_f32 v14, v13, v5
	v_dual_sub_f32 v15, v4, v12 :: v_dual_sub_f32 v4, v5, v13
	s_wait_loadcnt 0x1
	s_delay_alu instid0(VALU_DEP_1) | instskip(NEXT) | instid1(VALU_DEP_2)
	v_fma_f32 v16, v15, v11, v1
	v_fma_f32 v5, v14, v11, v4
	v_fma_f32 v12, -v15, v11, v1
	v_fma_f32 v13, v14, v11, -v4
	s_delay_alu instid0(VALU_DEP_4) | instskip(NEXT) | instid1(VALU_DEP_4)
	v_fma_f32 v4, -v10, v14, v16
	v_fmac_f32_e32 v5, v15, v10
	s_delay_alu instid0(VALU_DEP_4) | instskip(NEXT) | instid1(VALU_DEP_4)
	v_fmac_f32_e32 v12, v10, v14
	v_fmac_f32_e32 v13, v15, v10
	ds_store_b64 v8, v[4:5] offset:432
	ds_store_b64 v9, v[12:13] offset:2160
	ds_load_b64 v[4:5], v8 offset:864
	ds_load_b64 v[10:11], v9 offset:1728
	v_mul_lo_u16 v14, 0xab, v17
	s_delay_alu instid0(VALU_DEP_1) | instskip(NEXT) | instid1(VALU_DEP_1)
	v_lshrrev_b16 v21, 9, v14
	v_mul_lo_u16 v18, v21, 3
	s_delay_alu instid0(VALU_DEP_1) | instskip(SKIP_4) | instid1(VALU_DEP_1)
	v_sub_nc_u16 v18, v0, v18
	s_wait_dscnt 0x0
	v_dual_add_f32 v1, v4, v10 :: v_dual_add_f32 v12, v11, v5
	v_dual_sub_f32 v13, v4, v10 :: v_dual_sub_f32 v4, v5, v11
	s_wait_loadcnt 0x0
	v_fma_f32 v15, v13, v7, v1
	s_delay_alu instid0(VALU_DEP_2) | instskip(SKIP_4) | instid1(VALU_DEP_4)
	v_fma_f32 v5, v12, v7, v4
	v_fma_f32 v10, -v13, v7, v1
	v_fma_f32 v11, v12, v7, -v4
	v_add_nc_u32_e32 v1, 0x400, v8
	v_fma_f32 v4, -v6, v12, v15
	v_dual_fmac_f32 v5, v13, v6 :: v_dual_fmac_f32 v10, v6, v12
	s_delay_alu instid0(VALU_DEP_4)
	v_fmac_f32_e32 v11, v13, v6
	ds_store_b64 v8, v[4:5] offset:864
	ds_store_b64 v9, v[10:11] offset:1728
	global_wb scope:SCOPE_SE
	s_wait_dscnt 0x0
	s_barrier_signal -1
	s_barrier_wait -1
	global_inv scope:SCOPE_SE
	global_wb scope:SCOPE_SE
	s_barrier_signal -1
	s_barrier_wait -1
	global_inv scope:SCOPE_SE
	ds_load_2addr_b64 v[4:7], v8 offset1:54
	ds_load_2addr_b64 v[9:12], v8 offset0:108 offset1:162
	ds_load_2addr_b64 v[13:16], v1 offset0:88 offset1:142
	v_and_b32_e32 v27, 0xff, v18
	global_wb scope:SCOPE_SE
	s_wait_dscnt 0x0
	s_barrier_signal -1
	s_barrier_wait -1
	global_inv scope:SCOPE_SE
	v_dual_add_f32 v24, v5, v10 :: v_dual_add_f32 v31, v7, v12
	v_sub_f32_e32 v26, v9, v13
	v_mul_u32_u24_e32 v18, 5, v27
	v_dual_add_f32 v22, v9, v13 :: v_dual_add_f32 v25, v10, v14
	v_dual_sub_f32 v23, v10, v14 :: v_dual_add_f32 v32, v12, v16
	s_delay_alu instid0(VALU_DEP_3)
	v_dual_add_f32 v29, v11, v15 :: v_dual_lshlrev_b32 v18, 3, v18
	v_add_f32_e32 v20, v4, v9
	v_add_f32_e32 v28, v6, v11
	v_sub_f32_e32 v30, v12, v16
	v_fma_f32 v4, -0.5, v22, v4
	v_add_f32_e32 v12, v31, v16
	v_fma_f32 v5, -0.5, v25, v5
	v_dual_sub_f32 v33, v11, v15 :: v_dual_add_f32 v10, v24, v14
	v_fma_f32 v6, -0.5, v29, v6
	v_fmac_f32_e32 v7, -0.5, v32
	v_add_f32_e32 v9, v20, v13
	v_dual_add_f32 v11, v28, v15 :: v_dual_fmamk_f32 v14, v26, 0x3f5db3d7, v5
	v_fmamk_f32 v13, v23, 0xbf5db3d7, v4
	v_fmamk_f32 v15, v30, 0xbf5db3d7, v6
	v_fmac_f32_e32 v6, 0x3f5db3d7, v30
	v_dual_fmamk_f32 v16, v33, 0x3f5db3d7, v7 :: v_dual_lshlrev_b32 v27, 3, v27
	v_fmac_f32_e32 v4, 0x3f5db3d7, v23
	v_fmac_f32_e32 v5, 0xbf5db3d7, v26
	v_fmac_f32_e32 v7, 0xbf5db3d7, v33
	ds_store_2addr_b64 v19, v[9:10], v[13:14] offset1:1
	ds_store_2addr_b64 v19, v[11:12], v[15:16] offset0:162 offset1:163
	ds_store_2addr_b64 v19, v[4:5], v[6:7] offset0:2 offset1:164
	global_wb scope:SCOPE_SE
	s_wait_dscnt 0x0
	s_barrier_signal -1
	s_barrier_wait -1
	global_inv scope:SCOPE_SE
	s_clause 0x2
	global_load_b128 v[4:7], v18, s[4:5]
	global_load_b128 v[9:12], v18, s[4:5] offset:16
	global_load_b64 v[25:26], v18, s[4:5] offset:32
	v_mul_lo_u16 v13, v17, 57
	s_delay_alu instid0(VALU_DEP_1) | instskip(SKIP_4) | instid1(VALU_DEP_1)
	v_lshrrev_b16 v28, 10, v13
	ds_load_2addr_b64 v[13:16], v8 offset1:54
	v_and_b32_e32 v30, 0xffff, v21
	ds_load_2addr_b64 v[21:24], v1 offset0:88 offset1:142
	v_mul_lo_u16 v17, v28, 18
	v_sub_nc_u16 v29, v0, v17
	ds_load_2addr_b64 v[17:20], v8 offset0:108 offset1:162
	global_wb scope:SCOPE_SE
	s_wait_loadcnt_dscnt 0x0
	s_barrier_signal -1
	s_barrier_wait -1
	v_and_b32_e32 v33, 0xff, v29
	v_mul_u32_u24_e32 v29, 0x90, v30
	global_inv scope:SCOPE_SE
	v_add3_u32 v27, 0, v29, v27
	v_dual_mul_f32 v34, v12, v22 :: v_dual_mul_f32 v35, v26, v24
	v_mul_f32_e32 v26, v26, v23
	v_mul_u32_u24_e32 v30, 5, v33
	v_mul_f32_e32 v32, v10, v20
	s_delay_alu instid0(VALU_DEP_4) | instskip(SKIP_1) | instid1(VALU_DEP_4)
	v_fmac_f32_e32 v34, v11, v21
	v_mul_f32_e32 v10, v10, v19
	v_dual_mul_f32 v12, v12, v21 :: v_dual_lshlrev_b32 v29, 3, v30
	v_mul_f32_e32 v30, v5, v16
	v_mul_f32_e32 v5, v5, v15
	;; [unrolled: 1-line block ×3, first 2 shown]
	v_dual_mul_f32 v7, v7, v17 :: v_dual_fmac_f32 v32, v9, v19
	s_delay_alu instid0(VALU_DEP_4) | instskip(NEXT) | instid1(VALU_DEP_4)
	v_fmac_f32_e32 v30, v4, v15
	v_fma_f32 v15, v4, v16, -v5
	v_fma_f32 v5, v9, v20, -v10
	s_delay_alu instid0(VALU_DEP_4) | instskip(SKIP_4) | instid1(VALU_DEP_3)
	v_fma_f32 v4, v6, v18, -v7
	v_fmac_f32_e32 v31, v6, v17
	v_fma_f32 v6, v11, v22, -v12
	v_fma_f32 v7, v25, v24, -v26
	v_add_f32_e32 v20, v15, v5
	v_dual_add_f32 v12, v14, v4 :: v_dual_sub_f32 v11, v4, v6
	v_dual_add_f32 v4, v4, v6 :: v_dual_fmac_f32 v35, v25, v23
	v_dual_add_f32 v10, v31, v34 :: v_dual_add_f32 v17, v30, v32
	v_sub_f32_e32 v19, v5, v7
	v_add_f32_e32 v5, v5, v7
	s_delay_alu instid0(VALU_DEP_4)
	v_add_f32_e32 v18, v32, v35
	v_sub_f32_e32 v21, v32, v35
	v_fma_f32 v22, -0.5, v10, v13
	v_add_f32_e32 v10, v12, v6
	v_dual_add_f32 v6, v17, v35 :: v_dual_fmac_f32 v15, -0.5, v5
	v_dual_add_f32 v9, v13, v31 :: v_dual_sub_f32 v16, v31, v34
	v_dual_fmac_f32 v30, -0.5, v18 :: v_dual_add_f32 v7, v20, v7
	s_delay_alu instid0(VALU_DEP_3) | instskip(NEXT) | instid1(VALU_DEP_3)
	v_fmamk_f32 v12, v21, 0x3f5db3d7, v15
	v_add_f32_e32 v9, v9, v34
	v_fma_f32 v23, -0.5, v4, v14
	v_fmamk_f32 v13, v11, 0xbf5db3d7, v22
	v_fmac_f32_e32 v22, 0x3f5db3d7, v11
	v_fmamk_f32 v11, v19, 0xbf5db3d7, v30
	v_dual_fmac_f32 v15, 0xbf5db3d7, v21 :: v_dual_mul_f32 v18, 0.5, v12
	v_dual_fmamk_f32 v14, v16, 0x3f5db3d7, v23 :: v_dual_add_f32 v5, v10, v7
	v_fmac_f32_e32 v23, 0xbf5db3d7, v16
	v_mul_f32_e32 v16, 0xbf5db3d7, v12
	s_delay_alu instid0(VALU_DEP_4) | instskip(SKIP_3) | instid1(VALU_DEP_4)
	v_fmac_f32_e32 v18, 0x3f5db3d7, v11
	v_mul_f32_e32 v17, 0xbf5db3d7, v15
	v_dual_sub_f32 v7, v10, v7 :: v_dual_add_f32 v4, v9, v6
	v_sub_f32_e32 v6, v9, v6
	v_add_f32_e32 v10, v14, v18
	v_fmac_f32_e32 v16, 0.5, v11
	v_fmac_f32_e32 v30, 0x3f5db3d7, v19
	v_dual_mul_f32 v19, -0.5, v15 :: v_dual_sub_f32 v14, v14, v18
	s_delay_alu instid0(VALU_DEP_3) | instskip(NEXT) | instid1(VALU_DEP_3)
	v_add_f32_e32 v9, v13, v16
	v_fmac_f32_e32 v17, -0.5, v30
	s_delay_alu instid0(VALU_DEP_3) | instskip(SKIP_1) | instid1(VALU_DEP_2)
	v_fmac_f32_e32 v19, 0x3f5db3d7, v30
	v_sub_f32_e32 v13, v13, v16
	v_dual_add_f32 v11, v22, v17 :: v_dual_add_f32 v12, v23, v19
	v_dual_sub_f32 v15, v22, v17 :: v_dual_sub_f32 v16, v23, v19
	ds_store_2addr_b64 v27, v[4:5], v[9:10] offset1:3
	ds_store_2addr_b64 v27, v[11:12], v[6:7] offset0:6 offset1:9
	ds_store_2addr_b64 v27, v[13:14], v[15:16] offset0:12 offset1:15
	global_wb scope:SCOPE_SE
	s_wait_dscnt 0x0
	s_barrier_signal -1
	s_barrier_wait -1
	global_inv scope:SCOPE_SE
	s_clause 0x2
	global_load_b128 v[9:12], v29, s[4:5] offset:120
	global_load_b128 v[13:16], v29, s[4:5] offset:136
	global_load_b64 v[6:7], v29, s[4:5] offset:152
	v_dual_mov_b32 v5, 0 :: v_dual_lshlrev_b32 v4, 1, v0
	ds_load_2addr_b64 v[17:20], v8 offset1:54
	ds_load_2addr_b64 v[21:24], v8 offset0:108 offset1:162
	v_lshlrev_b32_e32 v33, 3, v33
	v_lshlrev_b64_e32 v[29:30], 3, v[4:5]
	v_add_nc_u32_e32 v4, 0x6c, v4
	s_delay_alu instid0(VALU_DEP_1)
	v_lshlrev_b64_e32 v[31:32], 3, v[4:5]
	v_and_b32_e32 v4, 0xffff, v28
	ds_load_2addr_b64 v[25:28], v1 offset0:88 offset1:142
	v_add_co_u32 v29, s0, s4, v29
	s_wait_alu 0xf1ff
	v_add_co_ci_u32_e64 v30, s0, s5, v30, s0
	v_mul_u32_u24_e32 v4, 0x360, v4
	v_add_co_u32 v31, s0, s4, v31
	s_wait_alu 0xf1ff
	v_add_co_ci_u32_e64 v32, s0, s5, v32, s0
	s_delay_alu instid0(VALU_DEP_3)
	v_add3_u32 v4, 0, v4, v33
	global_wb scope:SCOPE_SE
	s_wait_loadcnt_dscnt 0x0
	s_barrier_signal -1
	s_barrier_wait -1
	global_inv scope:SCOPE_SE
	v_dual_mul_f32 v33, v10, v20 :: v_dual_mul_f32 v34, v12, v22
	v_mul_f32_e32 v10, v10, v19
	v_dual_mul_f32 v12, v12, v21 :: v_dual_mul_f32 v35, v14, v24
	v_mul_f32_e32 v36, v16, v26
	s_delay_alu instid0(VALU_DEP_4)
	v_dual_mul_f32 v16, v16, v25 :: v_dual_fmac_f32 v33, v9, v19
	v_dual_mul_f32 v14, v14, v23 :: v_dual_mul_f32 v37, v7, v28
	v_mul_f32_e32 v7, v7, v27
	v_fma_f32 v9, v9, v20, -v10
	v_dual_fmac_f32 v34, v11, v21 :: v_dual_fmac_f32 v35, v13, v23
	v_fma_f32 v10, v11, v22, -v12
	v_fma_f32 v12, v15, v26, -v16
	;; [unrolled: 1-line block ×3, first 2 shown]
	v_dual_fmac_f32 v36, v15, v25 :: v_dual_fmac_f32 v37, v6, v27
	v_fma_f32 v6, v6, v28, -v7
	s_delay_alu instid0(VALU_DEP_4) | instskip(NEXT) | instid1(VALU_DEP_4)
	v_dual_add_f32 v7, v17, v34 :: v_dual_sub_f32 v14, v10, v12
	v_dual_add_f32 v15, v18, v10 :: v_dual_add_f32 v22, v9, v11
	v_dual_add_f32 v10, v10, v12 :: v_dual_add_f32 v19, v33, v35
	;; [unrolled: 1-line block ×3, first 2 shown]
	v_dual_sub_f32 v16, v34, v36 :: v_dual_sub_f32 v21, v11, v6
	v_add_f32_e32 v24, v7, v36
	s_delay_alu instid0(VALU_DEP_4) | instskip(SKIP_4) | instid1(VALU_DEP_3)
	v_fma_f32 v18, -0.5, v10, v18
	v_add_f32_e32 v11, v11, v6
	v_dual_add_f32 v10, v19, v37 :: v_dual_fmac_f32 v33, -0.5, v20
	v_fma_f32 v17, -0.5, v13, v17
	v_add_f32_e32 v13, v22, v6
	v_dual_sub_f32 v23, v35, v37 :: v_dual_add_f32 v6, v24, v10
	v_fmamk_f32 v19, v16, 0x3f5db3d7, v18
	v_fmac_f32_e32 v18, 0xbf5db3d7, v16
	v_dual_add_f32 v12, v15, v12 :: v_dual_fmac_f32 v9, -0.5, v11
	v_fmamk_f32 v15, v14, 0xbf5db3d7, v17
	v_fmac_f32_e32 v17, 0x3f5db3d7, v14
	s_delay_alu instid0(VALU_DEP_3) | instskip(SKIP_1) | instid1(VALU_DEP_2)
	v_fmamk_f32 v14, v23, 0x3f5db3d7, v9
	v_fmac_f32_e32 v9, 0xbf5db3d7, v23
	v_dual_fmamk_f32 v11, v21, 0xbf5db3d7, v33 :: v_dual_mul_f32 v16, 0xbf5db3d7, v14
	s_delay_alu instid0(VALU_DEP_2) | instskip(NEXT) | instid1(VALU_DEP_2)
	v_mul_f32_e32 v20, 0xbf5db3d7, v9
	v_dual_fmac_f32 v33, 0x3f5db3d7, v21 :: v_dual_fmac_f32 v16, 0.5, v11
	s_delay_alu instid0(VALU_DEP_1) | instskip(SKIP_1) | instid1(VALU_DEP_1)
	v_fmac_f32_e32 v20, -0.5, v33
	v_dual_mul_f32 v22, -0.5, v9 :: v_dual_mul_f32 v21, 0.5, v14
	v_dual_fmac_f32 v22, 0x3f5db3d7, v33 :: v_dual_fmac_f32 v21, 0x3f5db3d7, v11
	v_add_f32_e32 v7, v12, v13
	v_sub_f32_e32 v9, v24, v10
	v_dual_sub_f32 v10, v12, v13 :: v_dual_add_f32 v11, v15, v16
	s_delay_alu instid0(VALU_DEP_4)
	v_dual_add_f32 v12, v19, v21 :: v_dual_add_f32 v13, v17, v20
	v_dual_add_f32 v14, v18, v22 :: v_dual_sub_f32 v15, v15, v16
	v_dual_sub_f32 v17, v17, v20 :: v_dual_sub_f32 v16, v19, v21
	v_sub_f32_e32 v18, v18, v22
	ds_store_2addr_b64 v4, v[6:7], v[11:12] offset1:18
	ds_store_2addr_b64 v4, v[13:14], v[9:10] offset0:36 offset1:54
	ds_store_2addr_b64 v4, v[15:16], v[17:18] offset0:72 offset1:90
	global_wb scope:SCOPE_SE
	s_wait_dscnt 0x0
	s_barrier_signal -1
	s_barrier_wait -1
	global_inv scope:SCOPE_SE
	s_clause 0x1
	global_load_b128 v[9:12], v[29:30], off offset:840
	global_load_b128 v[13:16], v[31:32], off offset:840
	ds_load_2addr_b64 v[17:20], v8 offset0:108 offset1:162
	ds_load_2addr_b64 v[21:24], v1 offset0:88 offset1:142
	ds_load_2addr_b64 v[25:28], v8 offset1:54
	global_wb scope:SCOPE_SE
	s_wait_loadcnt_dscnt 0x0
	s_barrier_signal -1
	s_barrier_wait -1
	global_inv scope:SCOPE_SE
	v_mul_f32_e32 v4, v10, v18
	v_dual_mul_f32 v6, v10, v17 :: v_dual_mul_f32 v7, v12, v22
	v_mul_f32_e32 v10, v12, v21
	v_mul_f32_e32 v12, v14, v20
	v_dual_mul_f32 v14, v14, v19 :: v_dual_mul_f32 v29, v16, v24
	v_fmac_f32_e32 v4, v9, v17
	v_fma_f32 v6, v9, v18, -v6
	v_fmac_f32_e32 v7, v11, v21
	v_fma_f32 v10, v11, v22, -v10
	v_fmac_f32_e32 v29, v15, v23
	v_mul_f32_e32 v16, v16, v23
	v_dual_fmac_f32 v12, v13, v19 :: v_dual_add_f32 v11, v4, v25
	v_fma_f32 v9, v13, v20, -v14
	v_dual_add_f32 v14, v4, v7 :: v_dual_add_f32 v17, v6, v10
	s_delay_alu instid0(VALU_DEP_4) | instskip(SKIP_3) | instid1(VALU_DEP_4)
	v_fma_f32 v13, v15, v24, -v16
	v_sub_f32_e32 v15, v6, v10
	v_dual_add_f32 v16, v6, v26 :: v_dual_add_f32 v19, v12, v29
	v_dual_add_f32 v18, v27, v12 :: v_dual_add_f32 v21, v28, v9
	v_sub_f32_e32 v20, v9, v13
	v_add_f32_e32 v22, v9, v13
	v_fma_f32 v9, -0.5, v14, v25
	v_sub_f32_e32 v4, v4, v7
	v_dual_sub_f32 v23, v12, v29 :: v_dual_add_f32 v6, v11, v7
	v_add_f32_e32 v7, v16, v10
	v_fma_f32 v10, -0.5, v17, v26
	v_fma_f32 v27, -0.5, v19, v27
	v_dual_add_f32 v12, v21, v13 :: v_dual_fmamk_f32 v13, v15, 0xbf5db3d7, v9
	v_dual_fmac_f32 v9, 0x3f5db3d7, v15 :: v_dual_fmac_f32 v28, -0.5, v22
	s_delay_alu instid0(VALU_DEP_3) | instskip(SKIP_1) | instid1(VALU_DEP_3)
	v_fmamk_f32 v15, v20, 0xbf5db3d7, v27
	v_dual_add_f32 v11, v18, v29 :: v_dual_fmamk_f32 v14, v4, 0x3f5db3d7, v10
	v_dual_fmac_f32 v27, 0x3f5db3d7, v20 :: v_dual_fmamk_f32 v16, v23, 0x3f5db3d7, v28
	v_fmac_f32_e32 v10, 0xbf5db3d7, v4
	v_fmac_f32_e32 v28, 0xbf5db3d7, v23
	ds_store_2addr_b64 v8, v[6:7], v[11:12] offset1:54
	ds_store_2addr_b64 v8, v[13:14], v[15:16] offset0:108 offset1:162
	ds_store_2addr_b64 v1, v[9:10], v[27:28] offset0:88 offset1:142
	global_wb scope:SCOPE_SE
	s_wait_dscnt 0x0
	s_barrier_signal -1
	s_barrier_wait -1
	global_inv scope:SCOPE_SE
	s_and_saveexec_b32 s0, vcc_lo
	s_cbranch_execz .LBB0_19
; %bb.18:
	v_dual_mov_b32 v1, v5 :: v_dual_add_nc_u32 v4, 54, v0
	v_add_co_u32 v26, vcc_lo, s8, v2
	s_wait_alu 0xfffd
	v_add_co_ci_u32_e32 v27, vcc_lo, s9, v3, vcc_lo
	s_delay_alu instid0(VALU_DEP_3) | instskip(SKIP_3) | instid1(VALU_DEP_4)
	v_lshlrev_b64_e32 v[10:11], 3, v[0:1]
	v_lshlrev_b64_e32 v[1:2], 3, v[4:5]
	v_add_nc_u32_e32 v4, 0x6c, v0
	v_lshl_add_u32 v16, v0, 3, 0
	v_add_co_u32 v18, vcc_lo, v26, v10
	s_delay_alu instid0(VALU_DEP_3)
	v_lshlrev_b64_e32 v[14:15], 3, v[4:5]
	v_add_nc_u32_e32 v4, 0xa2, v0
	s_wait_alu 0xfffd
	v_add_co_ci_u32_e32 v19, vcc_lo, v27, v11, vcc_lo
	v_add_co_u32 v1, vcc_lo, v26, v1
	v_add_nc_u32_e32 v3, 0x400, v16
	ds_load_2addr_b64 v[6:9], v16 offset1:54
	s_wait_alu 0xfffd
	v_add_co_ci_u32_e32 v2, vcc_lo, v27, v2, vcc_lo
	ds_load_2addr_b64 v[10:13], v16 offset0:108 offset1:162
	v_lshlrev_b64_e32 v[20:21], 3, v[4:5]
	v_add_nc_u32_e32 v4, 0xd8, v0
	v_add_co_u32 v22, vcc_lo, v26, v14
	s_wait_alu 0xfffd
	v_add_co_ci_u32_e32 v23, vcc_lo, v27, v15, vcc_lo
	ds_load_2addr_b64 v[14:17], v3 offset0:88 offset1:142
	v_lshlrev_b64_e32 v[24:25], 3, v[4:5]
	v_add_nc_u32_e32 v4, 0x10e, v0
	v_add_co_u32 v20, vcc_lo, v26, v20
	s_wait_alu 0xfffd
	v_add_co_ci_u32_e32 v21, vcc_lo, v27, v21, vcc_lo
	s_delay_alu instid0(VALU_DEP_3) | instskip(SKIP_3) | instid1(VALU_DEP_3)
	v_lshlrev_b64_e32 v[3:4], 3, v[4:5]
	v_add_co_u32 v24, vcc_lo, v26, v24
	s_wait_alu 0xfffd
	v_add_co_ci_u32_e32 v25, vcc_lo, v27, v25, vcc_lo
	v_add_co_u32 v3, vcc_lo, v26, v3
	s_wait_alu 0xfffd
	v_add_co_ci_u32_e32 v4, vcc_lo, v27, v4, vcc_lo
	s_wait_dscnt 0x2
	s_clause 0x1
	global_store_b64 v[18:19], v[6:7], off
	global_store_b64 v[1:2], v[8:9], off
	s_wait_dscnt 0x1
	s_clause 0x1
	global_store_b64 v[22:23], v[10:11], off
	global_store_b64 v[20:21], v[12:13], off
	;; [unrolled: 4-line block ×3, first 2 shown]
.LBB0_19:
	s_nop 0
	s_sendmsg sendmsg(MSG_DEALLOC_VGPRS)
	s_endpgm
	.section	.rodata,"a",@progbits
	.p2align	6, 0x0
	.amdhsa_kernel fft_rtc_back_len324_factors_3_6_6_3_wgs_54_tpt_54_halfLds_sp_ip_CI_unitstride_sbrr_C2R_dirReg
		.amdhsa_group_segment_fixed_size 0
		.amdhsa_private_segment_fixed_size 0
		.amdhsa_kernarg_size 88
		.amdhsa_user_sgpr_count 2
		.amdhsa_user_sgpr_dispatch_ptr 0
		.amdhsa_user_sgpr_queue_ptr 0
		.amdhsa_user_sgpr_kernarg_segment_ptr 1
		.amdhsa_user_sgpr_dispatch_id 0
		.amdhsa_user_sgpr_private_segment_size 0
		.amdhsa_wavefront_size32 1
		.amdhsa_uses_dynamic_stack 0
		.amdhsa_enable_private_segment 0
		.amdhsa_system_sgpr_workgroup_id_x 1
		.amdhsa_system_sgpr_workgroup_id_y 0
		.amdhsa_system_sgpr_workgroup_id_z 0
		.amdhsa_system_sgpr_workgroup_info 0
		.amdhsa_system_vgpr_workitem_id 0
		.amdhsa_next_free_vgpr 38
		.amdhsa_next_free_sgpr 32
		.amdhsa_reserve_vcc 1
		.amdhsa_float_round_mode_32 0
		.amdhsa_float_round_mode_16_64 0
		.amdhsa_float_denorm_mode_32 3
		.amdhsa_float_denorm_mode_16_64 3
		.amdhsa_fp16_overflow 0
		.amdhsa_workgroup_processor_mode 1
		.amdhsa_memory_ordered 1
		.amdhsa_forward_progress 0
		.amdhsa_round_robin_scheduling 0
		.amdhsa_exception_fp_ieee_invalid_op 0
		.amdhsa_exception_fp_denorm_src 0
		.amdhsa_exception_fp_ieee_div_zero 0
		.amdhsa_exception_fp_ieee_overflow 0
		.amdhsa_exception_fp_ieee_underflow 0
		.amdhsa_exception_fp_ieee_inexact 0
		.amdhsa_exception_int_div_zero 0
	.end_amdhsa_kernel
	.text
.Lfunc_end0:
	.size	fft_rtc_back_len324_factors_3_6_6_3_wgs_54_tpt_54_halfLds_sp_ip_CI_unitstride_sbrr_C2R_dirReg, .Lfunc_end0-fft_rtc_back_len324_factors_3_6_6_3_wgs_54_tpt_54_halfLds_sp_ip_CI_unitstride_sbrr_C2R_dirReg
                                        ; -- End function
	.section	.AMDGPU.csdata,"",@progbits
; Kernel info:
; codeLenInByte = 4564
; NumSgprs: 34
; NumVgprs: 38
; ScratchSize: 0
; MemoryBound: 0
; FloatMode: 240
; IeeeMode: 1
; LDSByteSize: 0 bytes/workgroup (compile time only)
; SGPRBlocks: 4
; VGPRBlocks: 4
; NumSGPRsForWavesPerEU: 34
; NumVGPRsForWavesPerEU: 38
; Occupancy: 16
; WaveLimiterHint : 1
; COMPUTE_PGM_RSRC2:SCRATCH_EN: 0
; COMPUTE_PGM_RSRC2:USER_SGPR: 2
; COMPUTE_PGM_RSRC2:TRAP_HANDLER: 0
; COMPUTE_PGM_RSRC2:TGID_X_EN: 1
; COMPUTE_PGM_RSRC2:TGID_Y_EN: 0
; COMPUTE_PGM_RSRC2:TGID_Z_EN: 0
; COMPUTE_PGM_RSRC2:TIDIG_COMP_CNT: 0
	.text
	.p2alignl 7, 3214868480
	.fill 96, 4, 3214868480
	.type	__hip_cuid_9b606f31e5736f75,@object ; @__hip_cuid_9b606f31e5736f75
	.section	.bss,"aw",@nobits
	.globl	__hip_cuid_9b606f31e5736f75
__hip_cuid_9b606f31e5736f75:
	.byte	0                               ; 0x0
	.size	__hip_cuid_9b606f31e5736f75, 1

	.ident	"AMD clang version 19.0.0git (https://github.com/RadeonOpenCompute/llvm-project roc-6.4.0 25133 c7fe45cf4b819c5991fe208aaa96edf142730f1d)"
	.section	".note.GNU-stack","",@progbits
	.addrsig
	.addrsig_sym __hip_cuid_9b606f31e5736f75
	.amdgpu_metadata
---
amdhsa.kernels:
  - .args:
      - .actual_access:  read_only
        .address_space:  global
        .offset:         0
        .size:           8
        .value_kind:     global_buffer
      - .offset:         8
        .size:           8
        .value_kind:     by_value
      - .actual_access:  read_only
        .address_space:  global
        .offset:         16
        .size:           8
        .value_kind:     global_buffer
      - .actual_access:  read_only
        .address_space:  global
        .offset:         24
        .size:           8
        .value_kind:     global_buffer
      - .offset:         32
        .size:           8
        .value_kind:     by_value
      - .actual_access:  read_only
        .address_space:  global
        .offset:         40
        .size:           8
        .value_kind:     global_buffer
      - .actual_access:  read_only
        .address_space:  global
        .offset:         48
        .size:           8
        .value_kind:     global_buffer
      - .offset:         56
        .size:           4
        .value_kind:     by_value
      - .actual_access:  read_only
        .address_space:  global
        .offset:         64
        .size:           8
        .value_kind:     global_buffer
      - .actual_access:  read_only
        .address_space:  global
        .offset:         72
        .size:           8
        .value_kind:     global_buffer
      - .address_space:  global
        .offset:         80
        .size:           8
        .value_kind:     global_buffer
    .group_segment_fixed_size: 0
    .kernarg_segment_align: 8
    .kernarg_segment_size: 88
    .language:       OpenCL C
    .language_version:
      - 2
      - 0
    .max_flat_workgroup_size: 54
    .name:           fft_rtc_back_len324_factors_3_6_6_3_wgs_54_tpt_54_halfLds_sp_ip_CI_unitstride_sbrr_C2R_dirReg
    .private_segment_fixed_size: 0
    .sgpr_count:     34
    .sgpr_spill_count: 0
    .symbol:         fft_rtc_back_len324_factors_3_6_6_3_wgs_54_tpt_54_halfLds_sp_ip_CI_unitstride_sbrr_C2R_dirReg.kd
    .uniform_work_group_size: 1
    .uses_dynamic_stack: false
    .vgpr_count:     38
    .vgpr_spill_count: 0
    .wavefront_size: 32
    .workgroup_processor_mode: 1
amdhsa.target:   amdgcn-amd-amdhsa--gfx1201
amdhsa.version:
  - 1
  - 2
...

	.end_amdgpu_metadata
